;; amdgpu-corpus repo=ROCm/rocFFT kind=compiled arch=gfx906 opt=O3
	.text
	.amdgcn_target "amdgcn-amd-amdhsa--gfx906"
	.amdhsa_code_object_version 6
	.protected	fft_rtc_back_len784_factors_2_2_2_2_7_7_wgs_56_tpt_56_halfLds_sp_op_CI_CI_sbrr_dirReg ; -- Begin function fft_rtc_back_len784_factors_2_2_2_2_7_7_wgs_56_tpt_56_halfLds_sp_op_CI_CI_sbrr_dirReg
	.globl	fft_rtc_back_len784_factors_2_2_2_2_7_7_wgs_56_tpt_56_halfLds_sp_op_CI_CI_sbrr_dirReg
	.p2align	8
	.type	fft_rtc_back_len784_factors_2_2_2_2_7_7_wgs_56_tpt_56_halfLds_sp_op_CI_CI_sbrr_dirReg,@function
fft_rtc_back_len784_factors_2_2_2_2_7_7_wgs_56_tpt_56_halfLds_sp_op_CI_CI_sbrr_dirReg: ; @fft_rtc_back_len784_factors_2_2_2_2_7_7_wgs_56_tpt_56_halfLds_sp_op_CI_CI_sbrr_dirReg
; %bb.0:
	s_load_dwordx4 s[16:19], s[4:5], 0x18
	s_load_dwordx4 s[12:15], s[4:5], 0x0
	;; [unrolled: 1-line block ×3, first 2 shown]
	v_mul_u32_u24_e32 v1, 0x493, v0
	v_mov_b32_e32 v7, 0
	s_waitcnt lgkmcnt(0)
	s_load_dwordx2 s[20:21], s[16:17], 0x0
	s_load_dwordx2 s[2:3], s[18:19], 0x0
	v_cmp_lt_u64_e64 s[0:1], s[14:15], 2
	v_mov_b32_e32 v5, 0
	v_add_u32_sdwa v9, s6, v1 dst_sel:DWORD dst_unused:UNUSED_PAD src0_sel:DWORD src1_sel:WORD_1
	v_mov_b32_e32 v10, v7
	s_and_b64 vcc, exec, s[0:1]
	v_mov_b32_e32 v6, 0
	s_cbranch_vccnz .LBB0_8
; %bb.1:
	s_load_dwordx2 s[0:1], s[4:5], 0x10
	s_add_u32 s6, s18, 8
	s_addc_u32 s7, s19, 0
	s_add_u32 s22, s16, 8
	s_addc_u32 s23, s17, 0
	v_mov_b32_e32 v5, 0
	s_waitcnt lgkmcnt(0)
	s_add_u32 s24, s0, 8
	v_mov_b32_e32 v6, 0
	v_mov_b32_e32 v1, v5
	s_addc_u32 s25, s1, 0
	s_mov_b64 s[26:27], 1
	v_mov_b32_e32 v2, v6
.LBB0_2:                                ; =>This Inner Loop Header: Depth=1
	s_load_dwordx2 s[28:29], s[24:25], 0x0
                                        ; implicit-def: $vgpr3_vgpr4
	s_waitcnt lgkmcnt(0)
	v_or_b32_e32 v8, s29, v10
	v_cmp_ne_u64_e32 vcc, 0, v[7:8]
	s_and_saveexec_b64 s[0:1], vcc
	s_xor_b64 s[30:31], exec, s[0:1]
	s_cbranch_execz .LBB0_4
; %bb.3:                                ;   in Loop: Header=BB0_2 Depth=1
	v_cvt_f32_u32_e32 v3, s28
	v_cvt_f32_u32_e32 v4, s29
	s_sub_u32 s0, 0, s28
	s_subb_u32 s1, 0, s29
	v_mac_f32_e32 v3, 0x4f800000, v4
	v_rcp_f32_e32 v3, v3
	v_mul_f32_e32 v3, 0x5f7ffffc, v3
	v_mul_f32_e32 v4, 0x2f800000, v3
	v_trunc_f32_e32 v4, v4
	v_mac_f32_e32 v3, 0xcf800000, v4
	v_cvt_u32_f32_e32 v4, v4
	v_cvt_u32_f32_e32 v3, v3
	v_mul_lo_u32 v8, s0, v4
	v_mul_hi_u32 v11, s0, v3
	v_mul_lo_u32 v13, s1, v3
	v_mul_lo_u32 v12, s0, v3
	v_add_u32_e32 v8, v11, v8
	v_add_u32_e32 v8, v8, v13
	v_mul_hi_u32 v11, v3, v12
	v_mul_lo_u32 v13, v3, v8
	v_mul_hi_u32 v15, v3, v8
	v_mul_hi_u32 v14, v4, v12
	v_mul_lo_u32 v12, v4, v12
	v_mul_hi_u32 v16, v4, v8
	v_add_co_u32_e32 v11, vcc, v11, v13
	v_addc_co_u32_e32 v13, vcc, 0, v15, vcc
	v_mul_lo_u32 v8, v4, v8
	v_add_co_u32_e32 v11, vcc, v11, v12
	v_addc_co_u32_e32 v11, vcc, v13, v14, vcc
	v_addc_co_u32_e32 v12, vcc, 0, v16, vcc
	v_add_co_u32_e32 v8, vcc, v11, v8
	v_addc_co_u32_e32 v11, vcc, 0, v12, vcc
	v_add_co_u32_e32 v3, vcc, v3, v8
	v_addc_co_u32_e32 v4, vcc, v4, v11, vcc
	v_mul_lo_u32 v8, s0, v4
	v_mul_hi_u32 v11, s0, v3
	v_mul_lo_u32 v12, s1, v3
	v_mul_lo_u32 v13, s0, v3
	v_add_u32_e32 v8, v11, v8
	v_add_u32_e32 v8, v8, v12
	v_mul_lo_u32 v14, v3, v8
	v_mul_hi_u32 v15, v3, v13
	v_mul_hi_u32 v16, v3, v8
	;; [unrolled: 1-line block ×3, first 2 shown]
	v_mul_lo_u32 v13, v4, v13
	v_mul_hi_u32 v11, v4, v8
	v_add_co_u32_e32 v14, vcc, v15, v14
	v_addc_co_u32_e32 v15, vcc, 0, v16, vcc
	v_mul_lo_u32 v8, v4, v8
	v_add_co_u32_e32 v13, vcc, v14, v13
	v_addc_co_u32_e32 v12, vcc, v15, v12, vcc
	v_addc_co_u32_e32 v11, vcc, 0, v11, vcc
	v_add_co_u32_e32 v8, vcc, v12, v8
	v_addc_co_u32_e32 v11, vcc, 0, v11, vcc
	v_add_co_u32_e32 v8, vcc, v3, v8
	v_addc_co_u32_e32 v11, vcc, v4, v11, vcc
	v_mad_u64_u32 v[3:4], s[0:1], v9, v11, 0
	v_mul_hi_u32 v12, v9, v8
	v_add_co_u32_e32 v13, vcc, v12, v3
	v_addc_co_u32_e32 v14, vcc, 0, v4, vcc
	v_mad_u64_u32 v[3:4], s[0:1], v10, v8, 0
	v_mad_u64_u32 v[11:12], s[0:1], v10, v11, 0
	v_add_co_u32_e32 v3, vcc, v13, v3
	v_addc_co_u32_e32 v3, vcc, v14, v4, vcc
	v_addc_co_u32_e32 v4, vcc, 0, v12, vcc
	v_add_co_u32_e32 v8, vcc, v3, v11
	v_addc_co_u32_e32 v11, vcc, 0, v4, vcc
	v_mul_lo_u32 v12, s29, v8
	v_mul_lo_u32 v13, s28, v11
	v_mad_u64_u32 v[3:4], s[0:1], s28, v8, 0
	v_add3_u32 v4, v4, v13, v12
	v_sub_u32_e32 v12, v10, v4
	v_mov_b32_e32 v13, s29
	v_sub_co_u32_e32 v3, vcc, v9, v3
	v_subb_co_u32_e64 v12, s[0:1], v12, v13, vcc
	v_subrev_co_u32_e64 v13, s[0:1], s28, v3
	v_subbrev_co_u32_e64 v12, s[0:1], 0, v12, s[0:1]
	v_cmp_le_u32_e64 s[0:1], s29, v12
	v_cndmask_b32_e64 v14, 0, -1, s[0:1]
	v_cmp_le_u32_e64 s[0:1], s28, v13
	v_cndmask_b32_e64 v13, 0, -1, s[0:1]
	v_cmp_eq_u32_e64 s[0:1], s29, v12
	v_cndmask_b32_e64 v12, v14, v13, s[0:1]
	v_add_co_u32_e64 v13, s[0:1], 2, v8
	v_addc_co_u32_e64 v14, s[0:1], 0, v11, s[0:1]
	v_add_co_u32_e64 v15, s[0:1], 1, v8
	v_addc_co_u32_e64 v16, s[0:1], 0, v11, s[0:1]
	v_subb_co_u32_e32 v4, vcc, v10, v4, vcc
	v_cmp_ne_u32_e64 s[0:1], 0, v12
	v_cmp_le_u32_e32 vcc, s29, v4
	v_cndmask_b32_e64 v12, v16, v14, s[0:1]
	v_cndmask_b32_e64 v14, 0, -1, vcc
	v_cmp_le_u32_e32 vcc, s28, v3
	v_cndmask_b32_e64 v3, 0, -1, vcc
	v_cmp_eq_u32_e32 vcc, s29, v4
	v_cndmask_b32_e32 v3, v14, v3, vcc
	v_cmp_ne_u32_e32 vcc, 0, v3
	v_cndmask_b32_e64 v3, v15, v13, s[0:1]
	v_cndmask_b32_e32 v4, v11, v12, vcc
	v_cndmask_b32_e32 v3, v8, v3, vcc
.LBB0_4:                                ;   in Loop: Header=BB0_2 Depth=1
	s_andn2_saveexec_b64 s[0:1], s[30:31]
	s_cbranch_execz .LBB0_6
; %bb.5:                                ;   in Loop: Header=BB0_2 Depth=1
	v_cvt_f32_u32_e32 v3, s28
	s_sub_i32 s30, 0, s28
	v_rcp_iflag_f32_e32 v3, v3
	v_mul_f32_e32 v3, 0x4f7ffffe, v3
	v_cvt_u32_f32_e32 v3, v3
	v_mul_lo_u32 v4, s30, v3
	v_mul_hi_u32 v4, v3, v4
	v_add_u32_e32 v3, v3, v4
	v_mul_hi_u32 v3, v9, v3
	v_mul_lo_u32 v4, v3, s28
	v_add_u32_e32 v8, 1, v3
	v_sub_u32_e32 v4, v9, v4
	v_subrev_u32_e32 v11, s28, v4
	v_cmp_le_u32_e32 vcc, s28, v4
	v_cndmask_b32_e32 v4, v4, v11, vcc
	v_cndmask_b32_e32 v3, v3, v8, vcc
	v_add_u32_e32 v8, 1, v3
	v_cmp_le_u32_e32 vcc, s28, v4
	v_cndmask_b32_e32 v3, v3, v8, vcc
	v_mov_b32_e32 v4, v7
.LBB0_6:                                ;   in Loop: Header=BB0_2 Depth=1
	s_or_b64 exec, exec, s[0:1]
	v_mul_lo_u32 v8, v4, s28
	v_mul_lo_u32 v13, v3, s29
	v_mad_u64_u32 v[11:12], s[0:1], v3, s28, 0
	s_load_dwordx2 s[0:1], s[22:23], 0x0
	s_load_dwordx2 s[28:29], s[6:7], 0x0
	v_add3_u32 v8, v12, v13, v8
	v_sub_co_u32_e32 v9, vcc, v9, v11
	v_subb_co_u32_e32 v8, vcc, v10, v8, vcc
	s_waitcnt lgkmcnt(0)
	v_mul_lo_u32 v10, s0, v8
	v_mul_lo_u32 v11, s1, v9
	v_mad_u64_u32 v[5:6], s[0:1], s0, v9, v[5:6]
	v_mul_lo_u32 v8, s28, v8
	v_mul_lo_u32 v12, s29, v9
	v_mad_u64_u32 v[1:2], s[0:1], s28, v9, v[1:2]
	s_add_u32 s26, s26, 1
	s_addc_u32 s27, s27, 0
	s_add_u32 s6, s6, 8
	v_add3_u32 v2, v12, v2, v8
	s_addc_u32 s7, s7, 0
	v_mov_b32_e32 v8, s14
	s_add_u32 s22, s22, 8
	v_mov_b32_e32 v9, s15
	s_addc_u32 s23, s23, 0
	v_cmp_ge_u64_e32 vcc, s[26:27], v[8:9]
	s_add_u32 s24, s24, 8
	v_add3_u32 v6, v11, v6, v10
	s_addc_u32 s25, s25, 0
	s_cbranch_vccnz .LBB0_9
; %bb.7:                                ;   in Loop: Header=BB0_2 Depth=1
	v_mov_b32_e32 v10, v4
	v_mov_b32_e32 v9, v3
	s_branch .LBB0_2
.LBB0_8:
	v_mov_b32_e32 v1, v5
	v_mov_b32_e32 v3, v9
	;; [unrolled: 1-line block ×4, first 2 shown]
.LBB0_9:
	s_load_dwordx2 s[0:1], s[4:5], 0x28
	s_lshl_b64 s[14:15], s[14:15], 3
	s_add_u32 s4, s18, s14
	s_addc_u32 s5, s19, s15
                                        ; implicit-def: $sgpr18_sgpr19
                                        ; implicit-def: $vgpr34
                                        ; implicit-def: $vgpr35
                                        ; implicit-def: $vgpr36
                                        ; implicit-def: $vgpr37
                                        ; implicit-def: $vgpr38
                                        ; implicit-def: $vgpr39
                                        ; implicit-def: $vgpr40
	s_waitcnt lgkmcnt(0)
	v_cmp_gt_u64_e32 vcc, s[0:1], v[3:4]
	v_cmp_le_u64_e64 s[0:1], s[0:1], v[3:4]
	s_and_saveexec_b64 s[6:7], s[0:1]
	s_xor_b64 s[0:1], exec, s[6:7]
; %bb.10:
	s_mov_b32 s6, 0x4924925
	v_mul_hi_u32 v5, v0, s6
	s_mov_b64 s[18:19], 0
	v_mul_u32_u24_e32 v5, 56, v5
	v_sub_u32_e32 v34, v0, v5
	v_add_u32_e32 v35, 56, v34
	v_add_u32_e32 v36, 0x70, v34
	v_add_u32_e32 v37, 0xa8, v34
	v_add_u32_e32 v38, 0xe0, v34
	v_add_u32_e32 v39, 0x118, v34
	v_add_u32_e32 v40, 0x150, v34
                                        ; implicit-def: $vgpr0
                                        ; implicit-def: $vgpr5_vgpr6
; %bb.11:
	s_or_saveexec_b64 s[6:7], s[0:1]
	v_mov_b32_e32 v18, s18
	v_mov_b32_e32 v31, s19
	;; [unrolled: 1-line block ×14, first 2 shown]
                                        ; implicit-def: $vgpr23
                                        ; implicit-def: $vgpr21
                                        ; implicit-def: $vgpr7
                                        ; implicit-def: $vgpr11
                                        ; implicit-def: $vgpr9
                                        ; implicit-def: $vgpr25
                                        ; implicit-def: $vgpr27
	s_xor_b64 exec, exec, s[6:7]
	s_cbranch_execz .LBB0_13
; %bb.12:
	s_add_u32 s0, s16, s14
	s_mov_b32 s14, 0x4924925
	v_mul_hi_u32 v7, v0, s14
	s_addc_u32 s1, s17, s15
	s_load_dwordx2 s[0:1], s[0:1], 0x0
	v_lshlrev_b64 v[5:6], 3, v[5:6]
	v_mul_u32_u24_e32 v7, 56, v7
	v_sub_u32_e32 v34, v0, v7
	v_mad_u64_u32 v[7:8], s[14:15], s20, v34, 0
	s_waitcnt lgkmcnt(0)
	v_mul_lo_u32 v13, s1, v3
	v_mul_lo_u32 v14, s0, v4
	v_mad_u64_u32 v[9:10], s[0:1], s0, v3, 0
	v_mov_b32_e32 v0, v8
	v_mad_u64_u32 v[11:12], s[0:1], s21, v34, v[0:1]
	v_add3_u32 v10, v10, v14, v13
	v_lshlrev_b64 v[9:10], 3, v[9:10]
	v_mov_b32_e32 v8, v11
	v_mov_b32_e32 v0, s9
	v_add_co_u32_e64 v11, s[0:1], s8, v9
	v_add_u32_e32 v12, 0x188, v34
	v_addc_co_u32_e64 v0, s[0:1], v0, v10, s[0:1]
	v_mad_u64_u32 v[9:10], s[0:1], s20, v12, 0
	v_add_co_u32_e64 v13, s[0:1], v11, v5
	v_addc_co_u32_e64 v14, s[0:1], v0, v6, s[0:1]
	v_mov_b32_e32 v0, v10
	v_add_u32_e32 v35, 56, v34
	v_lshlrev_b64 v[5:6], 3, v[7:8]
	v_mad_u64_u32 v[7:8], s[0:1], s21, v12, v[0:1]
	v_mad_u64_u32 v[11:12], s[0:1], s20, v35, 0
	v_add_co_u32_e64 v41, s[0:1], v13, v5
	v_mov_b32_e32 v10, v7
	v_mov_b32_e32 v0, v12
	v_addc_co_u32_e64 v42, s[0:1], v14, v6, s[0:1]
	v_lshlrev_b64 v[5:6], 3, v[9:10]
	v_mad_u64_u32 v[7:8], s[0:1], s21, v35, v[0:1]
	v_or_b32_e32 v10, 0x1c0, v34
	v_mad_u64_u32 v[8:9], s[0:1], s20, v10, 0
	v_add_co_u32_e64 v43, s[0:1], v13, v5
	v_mov_b32_e32 v0, v9
	v_addc_co_u32_e64 v44, s[0:1], v14, v6, s[0:1]
	v_mov_b32_e32 v12, v7
	v_mad_u64_u32 v[9:10], s[0:1], s21, v10, v[0:1]
	v_add_u32_e32 v36, 0x70, v34
	v_lshlrev_b64 v[5:6], 3, v[11:12]
	v_mad_u64_u32 v[10:11], s[0:1], s20, v36, 0
	v_add_co_u32_e64 v45, s[0:1], v13, v5
	v_mov_b32_e32 v0, v11
	v_addc_co_u32_e64 v46, s[0:1], v14, v6, s[0:1]
	v_lshlrev_b64 v[5:6], 3, v[8:9]
	v_mad_u64_u32 v[7:8], s[0:1], s21, v36, v[0:1]
	v_add_u32_e32 v12, 0x1f8, v34
	v_mad_u64_u32 v[8:9], s[0:1], s20, v12, 0
	v_add_co_u32_e64 v47, s[0:1], v13, v5
	v_mov_b32_e32 v11, v7
	v_mov_b32_e32 v0, v9
	v_addc_co_u32_e64 v48, s[0:1], v14, v6, s[0:1]
	v_lshlrev_b64 v[5:6], 3, v[10:11]
	v_mad_u64_u32 v[9:10], s[0:1], s21, v12, v[0:1]
	v_add_u32_e32 v37, 0xa8, v34
	v_mad_u64_u32 v[10:11], s[0:1], s20, v37, 0
	v_add_co_u32_e64 v49, s[0:1], v13, v5
	v_mov_b32_e32 v0, v11
	v_addc_co_u32_e64 v50, s[0:1], v14, v6, s[0:1]
	v_lshlrev_b64 v[5:6], 3, v[8:9]
	v_mad_u64_u32 v[7:8], s[0:1], s21, v37, v[0:1]
	v_add_u32_e32 v12, 0x230, v34
	v_mad_u64_u32 v[8:9], s[0:1], s20, v12, 0
	v_add_co_u32_e64 v51, s[0:1], v13, v5
	v_mov_b32_e32 v11, v7
	v_mov_b32_e32 v0, v9
	v_addc_co_u32_e64 v52, s[0:1], v14, v6, s[0:1]
	v_lshlrev_b64 v[5:6], 3, v[10:11]
	v_mad_u64_u32 v[9:10], s[0:1], s21, v12, v[0:1]
	v_add_u32_e32 v38, 0xe0, v34
	;; [unrolled: 15-line block ×4, first 2 shown]
	v_mad_u64_u32 v[10:11], s[0:1], s20, v40, 0
	v_add_co_u32_e64 v61, s[0:1], v13, v5
	v_mov_b32_e32 v0, v11
	v_addc_co_u32_e64 v62, s[0:1], v14, v6, s[0:1]
	v_lshlrev_b64 v[5:6], 3, v[8:9]
	v_mad_u64_u32 v[7:8], s[0:1], s21, v40, v[0:1]
	v_add_u32_e32 v12, 0x2d8, v34
	v_mad_u64_u32 v[8:9], s[0:1], s20, v12, 0
	v_add_co_u32_e64 v63, s[0:1], v13, v5
	v_mov_b32_e32 v11, v7
	v_mov_b32_e32 v0, v9
	v_addc_co_u32_e64 v64, s[0:1], v14, v6, s[0:1]
	v_lshlrev_b64 v[5:6], 3, v[10:11]
	v_mad_u64_u32 v[9:10], s[0:1], s21, v12, v[0:1]
	v_add_co_u32_e64 v65, s[0:1], v13, v5
	v_addc_co_u32_e64 v66, s[0:1], v14, v6, s[0:1]
	v_lshlrev_b64 v[5:6], 3, v[8:9]
	v_add_co_u32_e64 v67, s[0:1], v13, v5
	v_addc_co_u32_e64 v68, s[0:1], v14, v6, s[0:1]
	global_load_dwordx2 v[18:19], v[41:42], off
	global_load_dwordx2 v[22:23], v[43:44], off
	;; [unrolled: 1-line block ×14, first 2 shown]
.LBB0_13:
	s_or_b64 exec, exec, s[6:7]
	s_waitcnt vmcnt(12)
	v_sub_f32_e32 v44, v19, v23
	s_waitcnt vmcnt(10)
	v_sub_f32_e32 v23, v30, v26
	;; [unrolled: 2-line block ×3, first 2 shown]
	v_sub_f32_e32 v42, v18, v22
	v_fma_f32 v22, v30, 2.0, -v23
	v_sub_f32_e32 v30, v29, v25
	v_fma_f32 v25, v28, 2.0, -v26
	s_waitcnt vmcnt(6)
	v_sub_f32_e32 v28, v32, v20
	v_sub_f32_e32 v48, v33, v21
	s_waitcnt vmcnt(4)
	v_sub_f32_e32 v6, v14, v6
	v_fma_f32 v41, v18, 2.0, -v42
	v_fma_f32 v43, v19, 2.0, -v44
	v_sub_f32_e32 v46, v31, v27
	v_fma_f32 v27, v32, 2.0, -v28
	v_fma_f32 v47, v33, 2.0, -v48
	;; [unrolled: 1-line block ×3, first 2 shown]
	v_lshl_add_u32 v18, v34, 3, 0
	v_lshl_add_u32 v19, v35, 3, 0
	;; [unrolled: 1-line block ×5, first 2 shown]
	s_waitcnt vmcnt(2)
	v_sub_f32_e32 v32, v16, v10
	s_waitcnt vmcnt(0)
	v_sub_f32_e32 v50, v12, v8
	ds_write_b64 v18, v[41:42]
	ds_write_b64 v19, v[22:23]
	;; [unrolled: 1-line block ×5, first 2 shown]
	v_lshlrev_b32_e32 v21, 2, v34
	v_lshlrev_b32_e32 v6, 2, v37
	v_fma_f32 v45, v31, 2.0, -v46
	v_fma_f32 v31, v16, 2.0, -v32
	;; [unrolled: 1-line block ×3, first 2 shown]
	v_lshl_add_u32 v51, v39, 3, 0
	v_lshl_add_u32 v16, v40, 3, 0
	v_sub_u32_e32 v5, v18, v21
	v_lshlrev_b32_e32 v22, 2, v35
	v_lshlrev_b32_e32 v23, 2, v36
	v_sub_u32_e32 v6, v33, v6
	v_lshlrev_b32_e32 v8, 2, v39
	v_lshlrev_b32_e32 v24, 2, v38
	;; [unrolled: 1-line block ×3, first 2 shown]
	s_load_dwordx2 s[0:1], s[4:5], 0x0
	v_fma_f32 v29, v29, 2.0, -v30
	ds_write_b64 v51, v[31:32]
	ds_write_b64 v16, v[49:50]
	s_waitcnt lgkmcnt(0)
	; wave barrier
	s_waitcnt lgkmcnt(0)
	ds_read_b32 v52, v5
	v_add_u32_e32 v14, 0x400, v5
	v_sub_u32_e32 v26, v19, v22
	v_sub_u32_e32 v27, v20, v23
	;; [unrolled: 1-line block ×3, first 2 shown]
	v_add_u32_e32 v53, 0x600, v5
	v_sub_u32_e32 v28, v0, v24
	v_add_u32_e32 v12, 0x800, v5
	v_sub_u32_e32 v8, v16, v25
	ds_read_b32 v54, v6
	ds_read_b32 v55, v28
	ds_read_b32 v56, v10
	ds_read_b32 v57, v8
	ds_read_b32 v58, v27
	ds_read_b32 v59, v26
	ds_read_b32 v60, v5 offset:2912
	ds_read2_b32 v[31:32], v14 offset0:136 offset1:192
	ds_read2_b32 v[41:42], v53 offset0:120 offset1:176
	;; [unrolled: 1-line block ×3, first 2 shown]
	s_waitcnt lgkmcnt(0)
	; wave barrier
	s_waitcnt lgkmcnt(0)
	ds_write_b64 v18, v[43:44]
	ds_write_b64 v19, v[45:46]
	;; [unrolled: 1-line block ×4, first 2 shown]
	v_sub_f32_e32 v30, v15, v7
	v_fma_f32 v29, v15, 2.0, -v30
	v_sub_f32_e32 v44, v17, v11
	v_fma_f32 v43, v17, 2.0, -v44
	ds_write_b64 v0, v[29:30]
	ds_write_b64 v51, v[43:44]
	v_sub_f32_e32 v30, v13, v9
	v_and_b32_e32 v7, 1, v34
	v_fma_f32 v29, v13, 2.0, -v30
	v_lshlrev_b32_e32 v9, 3, v7
	ds_write_b64 v16, v[29:30]
	s_waitcnt lgkmcnt(0)
	; wave barrier
	s_waitcnt lgkmcnt(0)
	global_load_dwordx2 v[29:30], v9, s[12:13]
	ds_read2_b32 v[43:44], v14 offset0:136 offset1:192
	ds_read2_b32 v[45:46], v53 offset0:120 offset1:176
	ds_read_b32 v47, v5 offset:2912
	s_movk_i32 s4, 0x7c
	s_movk_i32 s5, 0x2fc
	;; [unrolled: 1-line block ×3, first 2 shown]
	s_mov_b32 s7, 0xbf3bfb3b
	s_mov_b32 s8, 0x3eae86e6
	s_waitcnt vmcnt(0) lgkmcnt(2)
	v_mul_f32_e32 v9, v43, v30
	v_mul_f32_e32 v11, v44, v30
	v_fmac_f32_e32 v9, v31, v29
	v_fmac_f32_e32 v11, v32, v29
	v_mul_f32_e32 v13, v31, v30
	v_mul_f32_e32 v15, v32, v30
	ds_read2_b32 v[31:32], v12 offset0:104 offset1:160
	s_waitcnt lgkmcnt(2)
	v_mul_f32_e32 v33, v46, v30
	v_mul_f32_e32 v17, v45, v30
	v_fmac_f32_e32 v33, v42, v29
	v_mul_f32_e32 v42, v42, v30
	v_fmac_f32_e32 v17, v41, v29
	v_mul_f32_e32 v41, v41, v30
	v_fma_f32 v42, v46, v29, -v42
	v_mul_f32_e32 v46, v50, v30
	v_fma_f32 v13, v43, v29, -v13
	v_fma_f32 v15, v44, v29, -v15
	v_fma_f32 v41, v45, v29, -v41
	s_waitcnt lgkmcnt(0)
	v_mul_f32_e32 v43, v31, v30
	v_mul_f32_e32 v44, v32, v30
	;; [unrolled: 1-line block ×3, first 2 shown]
	v_fma_f32 v46, v32, v29, -v46
	v_mul_f32_e32 v32, v47, v30
	v_mul_f32_e32 v30, v60, v30
	v_sub_f32_e32 v9, v52, v9
	v_fmac_f32_e32 v43, v49, v29
	v_fmac_f32_e32 v44, v50, v29
	v_fma_f32 v45, v31, v29, -v45
	v_fmac_f32_e32 v32, v60, v29
	v_fma_f32 v47, v47, v29, -v30
	v_fma_f32 v29, v52, 2.0, -v9
	v_lshlrev_b32_e32 v52, 1, v34
	v_and_or_b32 v30, v52, s4, v7
	v_lshl_add_u32 v60, v30, 2, 0
	ds_read_b32 v48, v6
	ds_read_b32 v49, v28
	;; [unrolled: 1-line block ×7, first 2 shown]
	s_waitcnt lgkmcnt(0)
	; wave barrier
	s_waitcnt lgkmcnt(0)
	ds_write2_b32 v60, v29, v9 offset1:2
	v_sub_f32_e32 v9, v59, v11
	v_fma_f32 v11, v59, 2.0, -v9
	s_movk_i32 s4, 0xfc
	v_lshlrev_b32_e32 v59, 1, v35
	v_and_or_b32 v29, v59, s4, v7
	v_lshl_add_u32 v63, v29, 2, 0
	ds_write2_b32 v63, v11, v9 offset1:2
	v_lshlrev_b32_e32 v9, 1, v36
	s_movk_i32 s4, 0x1fc
	v_sub_f32_e32 v11, v58, v17
	v_and_or_b32 v29, v9, s4, v7
	v_fma_f32 v17, v58, 2.0, -v11
	v_lshl_add_u32 v58, v29, 2, 0
	ds_write2_b32 v58, v17, v11 offset1:2
	v_lshlrev_b32_e32 v11, 1, v37
	v_sub_f32_e32 v17, v54, v33
	v_and_or_b32 v30, v11, s4, v7
	v_fma_f32 v29, v54, 2.0, -v17
	v_lshl_add_u32 v33, v30, 2, 0
	ds_write2_b32 v33, v29, v17 offset1:2
	v_lshlrev_b32_e32 v17, 1, v38
	s_movk_i32 s4, 0x3fc
	v_sub_f32_e32 v29, v55, v43
	v_and_or_b32 v36, v17, s4, v7
	v_fma_f32 v30, v55, 2.0, -v29
	v_lshl_add_u32 v38, v36, 2, 0
	v_lshlrev_b32_e32 v54, 1, v39
	ds_write2_b32 v38, v30, v29 offset1:2
	v_sub_f32_e32 v29, v56, v44
	v_and_or_b32 v36, v54, s5, v7
	v_fma_f32 v30, v56, 2.0, -v29
	v_lshl_add_u32 v39, v36, 2, 0
	v_lshlrev_b32_e32 v44, 1, v40
	ds_write2_b32 v39, v30, v29 offset1:2
	v_sub_f32_e32 v29, v57, v32
	v_and_or_b32 v7, v44, s4, v7
	v_sub_f32_e32 v13, v31, v13
	v_fma_f32 v30, v57, 2.0, -v29
	v_lshl_add_u32 v7, v7, 2, 0
	v_fma_f32 v40, v31, 2.0, -v13
	ds_write2_b32 v7, v30, v29 offset1:2
	s_waitcnt lgkmcnt(0)
	; wave barrier
	s_waitcnt lgkmcnt(0)
	ds_read_b32 v55, v5
	ds_read_b32 v56, v6
	;; [unrolled: 1-line block ×7, first 2 shown]
	ds_read_b32 v68, v5 offset:2912
	ds_read2_b32 v[29:30], v14 offset0:136 offset1:192
	ds_read2_b32 v[31:32], v53 offset0:120 offset1:176
	;; [unrolled: 1-line block ×3, first 2 shown]
	s_waitcnt lgkmcnt(0)
	; wave barrier
	s_waitcnt lgkmcnt(0)
	ds_write2_b32 v60, v40, v13 offset1:2
	v_sub_f32_e32 v13, v62, v15
	v_fma_f32 v15, v62, 2.0, -v13
	ds_write2_b32 v63, v15, v13 offset1:2
	v_sub_f32_e32 v13, v61, v41
	v_fma_f32 v15, v61, 2.0, -v13
	;; [unrolled: 3-line block ×6, first 2 shown]
	ds_write2_b32 v7, v15, v13 offset1:2
	v_and_b32_e32 v7, 3, v34
	v_lshlrev_b32_e32 v13, 3, v7
	s_waitcnt lgkmcnt(0)
	; wave barrier
	s_waitcnt lgkmcnt(0)
	global_load_dwordx2 v[38:39], v13, s[12:13] offset:16
	ds_read2_b32 v[40:41], v14 offset0:136 offset1:192
	ds_read2_b32 v[42:43], v53 offset0:120 offset1:176
	s_movk_i32 s4, 0x78
	s_movk_i32 s5, 0x2f8
	s_waitcnt vmcnt(0) lgkmcnt(1)
	v_mul_f32_e32 v13, v40, v39
	v_mul_f32_e32 v15, v41, v39
	v_fmac_f32_e32 v13, v29, v38
	v_fmac_f32_e32 v15, v30, v38
	v_mul_f32_e32 v29, v29, v39
	v_mul_f32_e32 v30, v30, v39
	v_fma_f32 v33, v40, v38, -v29
	v_fma_f32 v40, v41, v38, -v30
	ds_read2_b32 v[29:30], v12 offset0:104 offset1:160
	s_waitcnt lgkmcnt(1)
	v_mul_f32_e32 v41, v42, v39
	v_mul_f32_e32 v45, v43, v39
	v_fmac_f32_e32 v41, v31, v38
	v_fmac_f32_e32 v45, v32, v38
	v_mul_f32_e32 v31, v31, v39
	v_mul_f32_e32 v32, v32, v39
	v_fma_f32 v42, v42, v38, -v31
	v_fma_f32 v43, v43, v38, -v32
	s_waitcnt lgkmcnt(0)
	v_mul_f32_e32 v31, v29, v39
	v_mul_f32_e32 v32, v30, v39
	v_fmac_f32_e32 v31, v36, v38
	v_fmac_f32_e32 v32, v37, v38
	v_mul_f32_e32 v36, v36, v39
	v_mul_f32_e32 v37, v37, v39
	v_fma_f32 v46, v29, v38, -v36
	v_fma_f32 v47, v30, v38, -v37
	ds_read_b32 v29, v5 offset:2912
	ds_read_b32 v48, v6
	ds_read_b32 v49, v28
	;; [unrolled: 1-line block ×7, first 2 shown]
	s_waitcnt lgkmcnt(7)
	v_mul_f32_e32 v36, v29, v39
	v_mul_f32_e32 v37, v68, v39
	v_fmac_f32_e32 v36, v68, v38
	v_fma_f32 v38, v29, v38, -v37
	v_sub_f32_e32 v13, v55, v13
	v_and_or_b32 v37, v52, s4, v7
	v_fma_f32 v29, v55, 2.0, -v13
	v_lshl_add_u32 v39, v37, 2, 0
	s_movk_i32 s4, 0xf8
	s_waitcnt lgkmcnt(0)
	; wave barrier
	s_waitcnt lgkmcnt(0)
	ds_write2_b32 v39, v29, v13 offset1:4
	v_sub_f32_e32 v13, v67, v15
	v_and_or_b32 v29, v59, s4, v7
	v_fma_f32 v15, v67, 2.0, -v13
	v_lshl_add_u32 v55, v29, 2, 0
	s_movk_i32 s4, 0x1f8
	ds_write2_b32 v55, v15, v13 offset1:4
	v_sub_f32_e32 v13, v66, v41
	v_and_or_b32 v29, v9, s4, v7
	v_fma_f32 v15, v66, 2.0, -v13
	v_lshl_add_u32 v41, v29, 2, 0
	ds_write2_b32 v41, v15, v13 offset1:4
	v_sub_f32_e32 v13, v56, v45
	v_and_or_b32 v29, v11, s4, v7
	v_fma_f32 v15, v56, 2.0, -v13
	v_lshl_add_u32 v45, v29, 2, 0
	s_movk_i32 s4, 0x3f8
	ds_write2_b32 v45, v15, v13 offset1:4
	v_sub_f32_e32 v13, v57, v31
	v_and_or_b32 v29, v17, s4, v7
	v_fma_f32 v15, v57, 2.0, -v13
	v_lshl_add_u32 v56, v29, 2, 0
	ds_write2_b32 v56, v15, v13 offset1:4
	v_sub_f32_e32 v13, v64, v32
	v_and_or_b32 v29, v54, s5, v7
	v_fma_f32 v15, v64, 2.0, -v13
	v_lshl_add_u32 v57, v29, 2, 0
	;; [unrolled: 5-line block ×3, first 2 shown]
	ds_write2_b32 v7, v15, v13 offset1:4
	v_sub_f32_e32 v13, v30, v33
	v_fma_f32 v15, v30, 2.0, -v13
	s_waitcnt lgkmcnt(0)
	; wave barrier
	s_waitcnt lgkmcnt(0)
	ds_read_b32 v33, v5
	ds_read_b32 v61, v6
	;; [unrolled: 1-line block ×7, first 2 shown]
	ds_read_b32 v67, v5 offset:2912
	ds_read2_b32 v[29:30], v14 offset0:136 offset1:192
	ds_read2_b32 v[31:32], v53 offset0:120 offset1:176
	;; [unrolled: 1-line block ×3, first 2 shown]
	s_waitcnt lgkmcnt(0)
	; wave barrier
	s_waitcnt lgkmcnt(0)
	ds_write2_b32 v39, v15, v13 offset1:4
	v_sub_f32_e32 v13, v60, v40
	v_fma_f32 v15, v60, 2.0, -v13
	ds_write2_b32 v55, v15, v13 offset1:4
	v_sub_f32_e32 v13, v58, v42
	v_fma_f32 v15, v58, 2.0, -v13
	;; [unrolled: 3-line block ×6, first 2 shown]
	ds_write2_b32 v7, v15, v13 offset1:4
	v_and_b32_e32 v7, 7, v34
	v_lshlrev_b32_e32 v13, 3, v7
	s_waitcnt lgkmcnt(0)
	; wave barrier
	s_waitcnt lgkmcnt(0)
	global_load_dwordx2 v[38:39], v13, s[12:13] offset:48
	ds_read2_b32 v[40:41], v14 offset0:136 offset1:192
	ds_read2_b32 v[42:43], v53 offset0:120 offset1:176
	s_movk_i32 s4, 0x70
	s_movk_i32 s5, 0xf0
	s_waitcnt vmcnt(0) lgkmcnt(1)
	v_mul_f32_e32 v13, v40, v39
	v_mul_f32_e32 v15, v41, v39
	v_fmac_f32_e32 v13, v29, v38
	v_fmac_f32_e32 v15, v30, v38
	v_mul_f32_e32 v29, v29, v39
	v_mul_f32_e32 v30, v30, v39
	v_fma_f32 v40, v40, v38, -v29
	v_fma_f32 v41, v41, v38, -v30
	ds_read2_b32 v[29:30], v12 offset0:104 offset1:160
	s_waitcnt lgkmcnt(1)
	v_mul_f32_e32 v45, v42, v39
	v_mul_f32_e32 v46, v43, v39
	v_fmac_f32_e32 v45, v31, v38
	v_fmac_f32_e32 v46, v32, v38
	v_mul_f32_e32 v31, v31, v39
	v_mul_f32_e32 v32, v32, v39
	v_fma_f32 v31, v42, v38, -v31
	v_fma_f32 v32, v43, v38, -v32
	s_waitcnt lgkmcnt(0)
	v_mul_f32_e32 v42, v29, v39
	v_mul_f32_e32 v43, v30, v39
	v_fmac_f32_e32 v42, v36, v38
	v_fmac_f32_e32 v43, v37, v38
	v_mul_f32_e32 v36, v36, v39
	v_mul_f32_e32 v37, v37, v39
	v_fma_f32 v29, v29, v38, -v36
	v_fma_f32 v30, v30, v38, -v37
	ds_read_b32 v36, v5 offset:2912
	ds_read_b32 v37, v8
	ds_read_b32 v47, v10
	;; [unrolled: 1-line block ×7, first 2 shown]
	s_waitcnt lgkmcnt(7)
	v_mul_f32_e32 v10, v36, v39
	v_mul_f32_e32 v39, v67, v39
	v_fmac_f32_e32 v10, v67, v38
	v_fma_f32 v36, v36, v38, -v39
	v_sub_f32_e32 v13, v33, v13
	v_and_or_b32 v38, v52, s4, v7
	v_fma_f32 v33, v33, 2.0, -v13
	v_lshl_add_u32 v38, v38, 2, 0
	s_waitcnt lgkmcnt(0)
	; wave barrier
	s_waitcnt lgkmcnt(0)
	ds_write2_b32 v38, v33, v13 offset1:8
	v_sub_f32_e32 v13, v66, v15
	v_and_or_b32 v33, v59, s5, v7
	v_fma_f32 v15, v66, 2.0, -v13
	v_lshl_add_u32 v33, v33, 2, 0
	s_movk_i32 s5, 0x1f0
	ds_write2_b32 v33, v15, v13 offset1:8
	v_sub_f32_e32 v13, v65, v45
	v_and_or_b32 v9, v9, s5, v7
	v_fma_f32 v15, v65, 2.0, -v13
	v_lshl_add_u32 v39, v9, 2, 0
	v_sub_f32_e32 v9, v61, v46
	v_and_or_b32 v11, v11, s5, v7
	ds_write2_b32 v39, v15, v13 offset1:8
	v_fma_f32 v13, v61, 2.0, -v9
	v_lshl_add_u32 v11, v11, 2, 0
	s_movk_i32 s5, 0x3f0
	ds_write2_b32 v11, v13, v9 offset1:8
	v_sub_f32_e32 v9, v62, v42
	v_and_or_b32 v15, v17, s5, v7
	v_fma_f32 v13, v62, 2.0, -v9
	v_lshl_add_u32 v15, v15, 2, 0
	ds_write2_b32 v15, v13, v9 offset1:8
	v_sub_f32_e32 v9, v63, v43
	v_and_or_b32 v17, v54, s6, v7
	v_fma_f32 v13, v63, 2.0, -v9
	v_lshl_add_u32 v17, v17, 2, 0
	ds_write2_b32 v17, v13, v9 offset1:8
	v_sub_f32_e32 v13, v6, v40
	v_fma_f32 v40, v6, 2.0, -v13
	v_sub_f32_e32 v6, v64, v10
	v_and_or_b32 v7, v44, s5, v7
	v_fma_f32 v9, v64, 2.0, -v6
	v_lshl_add_u32 v7, v7, 2, 0
	ds_write2_b32 v7, v9, v6 offset1:8
	s_waitcnt lgkmcnt(0)
	; wave barrier
	s_waitcnt lgkmcnt(0)
	ds_read_b32 v68, v8
	ds_read_b32 v69, v28
	;; [unrolled: 1-line block ×4, first 2 shown]
	ds_read2_b32 v[9:10], v5 offset1:168
	ds_read2_b32 v[56:57], v14 offset0:192 offset1:248
	ds_read2_b32 v[58:59], v12 offset0:48 offset1:104
	ds_read2_b32 v[60:61], v12 offset0:160 offset1:216
	ds_read2_b32 v[62:63], v14 offset0:24 offset1:136
	s_waitcnt lgkmcnt(0)
	; wave barrier
	s_waitcnt lgkmcnt(0)
	ds_write2_b32 v38, v40, v13 offset1:8
	v_sub_f32_e32 v13, v51, v41
	v_fma_f32 v38, v51, 2.0, -v13
	ds_write2_b32 v33, v38, v13 offset1:8
	v_sub_f32_e32 v13, v50, v31
	v_fma_f32 v31, v50, 2.0, -v13
	ds_write2_b32 v39, v31, v13 offset1:8
	v_sub_f32_e32 v13, v49, v32
	v_fma_f32 v31, v49, 2.0, -v13
	ds_write2_b32 v11, v31, v13 offset1:8
	v_sub_f32_e32 v11, v48, v29
	v_fma_f32 v13, v48, 2.0, -v11
	v_sub_f32_e32 v29, v47, v30
	v_sub_f32_e32 v31, v37, v36
	v_fma_f32 v30, v47, 2.0, -v29
	v_fma_f32 v32, v37, 2.0, -v31
	ds_write2_b32 v15, v13, v11 offset1:8
	ds_write2_b32 v17, v30, v29 offset1:8
	;; [unrolled: 1-line block ×3, first 2 shown]
	v_and_b32_e32 v11, 15, v34
	v_mul_u32_u24_e32 v7, 6, v11
	v_lshlrev_b32_e32 v13, 3, v7
	s_waitcnt lgkmcnt(0)
	; wave barrier
	s_waitcnt lgkmcnt(0)
	global_load_dwordx4 v[29:32], v13, s[12:13] offset:144
	v_and_b32_e32 v7, 15, v35
	v_mul_u32_u24_e32 v15, 6, v7
	v_lshlrev_b32_e32 v15, 3, v15
	global_load_dwordx4 v[36:39], v15, s[12:13] offset:144
	global_load_dwordx4 v[40:43], v13, s[12:13] offset:112
	;; [unrolled: 1-line block ×5, first 2 shown]
	ds_read2_b32 v[64:65], v12 offset0:48 offset1:104
	ds_read2_b32 v[66:67], v12 offset0:160 offset1:216
	s_mov_b32 s5, 0xbf5ff5aa
	s_mov_b32 s6, 0x3f3bfb3b
	s_waitcnt vmcnt(5) lgkmcnt(1)
	v_mul_f32_e32 v13, v64, v30
	v_mul_f32_e32 v15, v58, v30
	v_fmac_f32_e32 v13, v58, v29
	v_fma_f32 v15, v64, v29, -v15
	v_mul_f32_e32 v29, v60, v32
	ds_read_b32 v30, v27
	s_waitcnt lgkmcnt(1)
	v_fma_f32 v33, v66, v31, -v29
	s_waitcnt vmcnt(4)
	v_mul_f32_e32 v58, v65, v37
	v_mul_f32_e32 v29, v59, v37
	;; [unrolled: 1-line block ×3, first 2 shown]
	v_fmac_f32_e32 v58, v59, v36
	v_fma_f32 v36, v65, v36, -v29
	v_mul_f32_e32 v37, v67, v39
	v_mul_f32_e32 v29, v61, v39
	v_fmac_f32_e32 v17, v60, v31
	v_fmac_f32_e32 v37, v61, v38
	v_fma_f32 v38, v67, v38, -v29
	ds_read_b32 v29, v28
	ds_read_b32 v31, v8
	;; [unrolled: 1-line block ×3, first 2 shown]
	s_waitcnt vmcnt(3) lgkmcnt(3)
	v_mul_f32_e32 v59, v30, v41
	v_mul_f32_e32 v32, v70, v41
	v_fmac_f32_e32 v59, v70, v40
	v_fma_f32 v40, v30, v40, -v32
	s_waitcnt lgkmcnt(2)
	v_mul_f32_e32 v41, v29, v43
	v_mul_f32_e32 v30, v69, v43
	v_fmac_f32_e32 v41, v69, v42
	v_fma_f32 v42, v29, v42, -v30
	ds_read2_b32 v[29:30], v14 offset0:192 offset1:248
	s_waitcnt vmcnt(2) lgkmcnt(2)
	v_mul_f32_e32 v43, v31, v45
	v_mul_f32_e32 v32, v68, v45
	v_fmac_f32_e32 v43, v68, v44
	v_fma_f32 v44, v31, v44, -v32
	s_waitcnt lgkmcnt(0)
	v_mul_f32_e32 v45, v29, v47
	v_mul_f32_e32 v31, v56, v47
	v_fmac_f32_e32 v45, v56, v46
	v_fma_f32 v46, v29, v46, -v31
	ds_read2_b32 v[31:32], v14 offset0:24 offset1:136
	s_waitcnt vmcnt(1)
	v_mul_f32_e32 v47, v30, v51
	v_mul_f32_e32 v29, v57, v51
	v_fmac_f32_e32 v47, v57, v50
	v_fma_f32 v50, v30, v50, -v29
	v_mul_f32_e32 v29, v63, v49
	s_waitcnt lgkmcnt(0)
	v_mul_f32_e32 v51, v32, v49
	v_fma_f32 v32, v32, v48, -v29
	ds_read2_b32 v[29:30], v5 offset1:168
	s_waitcnt vmcnt(0)
	v_mul_f32_e32 v49, v62, v55
	v_fmac_f32_e32 v51, v63, v48
	v_mul_f32_e32 v48, v31, v55
	v_fma_f32 v31, v31, v54, -v49
	s_waitcnt lgkmcnt(0)
	v_mul_f32_e32 v49, v30, v53
	v_fmac_f32_e32 v49, v10, v52
	v_mul_f32_e32 v10, v10, v53
	v_fma_f32 v10, v30, v52, -v10
	v_add_f32_e32 v30, v59, v17
	v_add_f32_e32 v52, v41, v13
	v_fmac_f32_e32 v48, v62, v54
	v_add_f32_e32 v53, v43, v45
	v_add_f32_e32 v54, v52, v30
	v_sub_f32_e32 v55, v52, v30
	v_sub_f32_e32 v30, v30, v53
	;; [unrolled: 1-line block ×3, first 2 shown]
	v_add_f32_e32 v53, v53, v54
	v_sub_f32_e32 v56, v42, v15
	v_sub_f32_e32 v57, v46, v44
	;; [unrolled: 1-line block ×3, first 2 shown]
	v_add_f32_e32 v60, v57, v56
	v_add_f32_e32 v9, v9, v53
	v_sub_f32_e32 v61, v57, v56
	v_sub_f32_e32 v57, v54, v57
	;; [unrolled: 1-line block ×3, first 2 shown]
	v_add_f32_e32 v54, v60, v54
	v_mov_b32_e32 v60, v9
	v_fmac_f32_e32 v60, 0xbf955555, v53
	v_lshrrev_b32_e32 v53, 4, v34
	v_mul_u32_u24_e32 v53, 0x70, v53
	v_or_b32_e32 v11, v53, v11
	v_mul_f32_e32 v30, 0x3f4a47b2, v30
	v_mul_f32_e32 v53, 0x3f08b237, v61
	v_fma_f32 v61, v55, s7, -v30
	v_fmac_f32_e32 v30, 0x3d64c772, v52
	v_fma_f32 v62, v56, s5, -v53
	v_fmac_f32_e32 v53, 0xbeae86e6, v57
	v_add_f32_e32 v30, v30, v60
	v_fmac_f32_e32 v53, 0xbee1c552, v54
	v_lshl_add_u32 v63, v11, 2, 0
	v_add_f32_e32 v11, v53, v30
	s_waitcnt lgkmcnt(0)
	; wave barrier
	ds_write2_b32 v63, v9, v11 offset1:16
	v_mul_f32_e32 v9, 0x3d64c772, v52
	v_mul_f32_e32 v11, 0xbf5ff5aa, v56
	v_fma_f32 v9, v55, s6, -v9
	v_fma_f32 v11, v57, s8, -v11
	v_add_f32_e32 v9, v9, v60
	v_add_f32_e32 v52, v61, v60
	v_fmac_f32_e32 v62, 0xbee1c552, v54
	v_fmac_f32_e32 v11, 0xbee1c552, v54
	v_add_f32_e32 v54, v11, v52
	v_sub_f32_e32 v55, v9, v62
	v_add_f32_e32 v9, v62, v9
	v_sub_f32_e32 v11, v52, v11
	ds_write2_b32 v63, v9, v11 offset0:64 offset1:80
	v_add_f32_e32 v9, v40, v33
	v_add_f32_e32 v15, v42, v15
	v_sub_f32_e32 v11, v59, v17
	v_add_f32_e32 v17, v44, v46
	v_add_f32_e32 v40, v15, v9
	v_sub_f32_e32 v13, v41, v13
	v_sub_f32_e32 v33, v45, v43
	;; [unrolled: 1-line block ×5, first 2 shown]
	v_add_f32_e32 v17, v17, v40
	v_add_f32_e32 v40, v33, v13
	;; [unrolled: 1-line block ×3, first 2 shown]
	v_sub_f32_e32 v42, v33, v13
	v_sub_f32_e32 v33, v11, v33
	;; [unrolled: 1-line block ×3, first 2 shown]
	v_add_f32_e32 v11, v40, v11
	v_mov_b32_e32 v40, v29
	v_fmac_f32_e32 v40, 0xbf955555, v17
	v_mul_f32_e32 v9, 0x3f4a47b2, v9
	v_mul_f32_e32 v17, 0x3d64c772, v15
	v_fma_f32 v17, v41, s6, -v17
	v_fma_f32 v41, v41, s7, -v9
	v_fmac_f32_e32 v9, 0x3d64c772, v15
	v_mul_f32_e32 v15, 0x3f08b237, v42
	v_mul_f32_e32 v42, 0xbf5ff5aa, v13
	v_fma_f32 v13, v13, s5, -v15
	v_fmac_f32_e32 v15, 0xbeae86e6, v33
	v_fma_f32 v33, v33, s8, -v42
	v_add_f32_e32 v9, v9, v40
	v_add_f32_e32 v17, v17, v40
	;; [unrolled: 1-line block ×3, first 2 shown]
	v_fmac_f32_e32 v15, 0xbee1c552, v11
	v_fmac_f32_e32 v13, 0xbee1c552, v11
	;; [unrolled: 1-line block ×3, first 2 shown]
	v_add_f32_e32 v41, v13, v17
	v_sub_f32_e32 v42, v17, v13
	v_sub_f32_e32 v43, v40, v33
	v_add_f32_e32 v33, v33, v40
	v_sub_f32_e32 v11, v30, v53
	v_sub_f32_e32 v30, v9, v15
	v_add_f32_e32 v40, v15, v9
	v_add_f32_e32 v9, v49, v37
	;; [unrolled: 1-line block ×4, first 2 shown]
	v_sub_f32_e32 v10, v10, v38
	v_add_f32_e32 v38, v31, v36
	v_sub_f32_e32 v31, v31, v36
	v_add_f32_e32 v36, v51, v47
	v_add_f32_e32 v46, v17, v9
	v_sub_f32_e32 v13, v49, v37
	v_sub_f32_e32 v37, v48, v58
	;; [unrolled: 1-line block ×3, first 2 shown]
	v_add_f32_e32 v45, v32, v50
	v_sub_f32_e32 v47, v17, v9
	v_sub_f32_e32 v9, v9, v36
	;; [unrolled: 1-line block ×3, first 2 shown]
	v_add_f32_e32 v36, v36, v46
	v_add_f32_e32 v46, v38, v15
	v_sub_f32_e32 v32, v50, v32
	v_sub_f32_e32 v48, v38, v15
	;; [unrolled: 1-line block ×4, first 2 shown]
	v_add_f32_e32 v45, v45, v46
	v_add_f32_e32 v46, v44, v37
	v_sub_f32_e32 v49, v44, v37
	v_sub_f32_e32 v44, v13, v44
	;; [unrolled: 1-line block ×3, first 2 shown]
	v_add_f32_e32 v13, v46, v13
	v_add_f32_e32 v46, v32, v31
	;; [unrolled: 1-line block ×3, first 2 shown]
	v_sub_f32_e32 v50, v32, v31
	v_sub_f32_e32 v32, v10, v32
	;; [unrolled: 1-line block ×3, first 2 shown]
	v_add_f32_e32 v10, v46, v10
	v_mov_b32_e32 v46, v6
	v_fmac_f32_e32 v46, 0xbf955555, v36
	v_add_f32_e32 v36, v39, v45
	v_mov_b32_e32 v39, v36
	v_fmac_f32_e32 v39, 0xbf955555, v45
	v_mul_f32_e32 v9, 0x3f4a47b2, v9
	v_mul_f32_e32 v45, 0x3d64c772, v17
	v_fma_f32 v45, v47, s6, -v45
	v_fma_f32 v47, v47, s7, -v9
	v_fmac_f32_e32 v9, 0x3d64c772, v17
	v_mul_f32_e32 v15, 0x3f4a47b2, v15
	v_mul_f32_e32 v17, 0x3d64c772, v38
	v_fma_f32 v17, v48, s6, -v17
	v_fma_f32 v48, v48, s7, -v15
	v_fmac_f32_e32 v15, 0x3d64c772, v38
	v_mul_f32_e32 v38, 0x3f08b237, v49
	v_mul_f32_e32 v49, 0xbf5ff5aa, v37
	v_fma_f32 v37, v37, s5, -v38
	v_fmac_f32_e32 v38, 0xbeae86e6, v44
	v_fma_f32 v44, v44, s8, -v49
	v_mul_f32_e32 v49, 0x3f08b237, v50
	v_mul_f32_e32 v50, 0xbf5ff5aa, v31
	v_fma_f32 v31, v31, s5, -v49
	v_fmac_f32_e32 v49, 0xbeae86e6, v32
	v_fma_f32 v32, v32, s8, -v50
	v_add_f32_e32 v9, v9, v46
	v_add_f32_e32 v45, v45, v46
	;; [unrolled: 1-line block ×4, first 2 shown]
	v_fmac_f32_e32 v37, 0xbee1c552, v13
	v_fmac_f32_e32 v31, 0xbee1c552, v10
	v_fmac_f32_e32 v32, 0xbee1c552, v10
	v_fmac_f32_e32 v38, 0xbee1c552, v13
	v_fmac_f32_e32 v44, 0xbee1c552, v13
	v_fmac_f32_e32 v49, 0xbee1c552, v10
	v_sub_f32_e32 v10, v45, v31
	v_add_f32_e32 v13, v31, v45
	v_add_f32_e32 v31, v37, v17
	v_sub_f32_e32 v37, v17, v37
	v_add_f32_e32 v17, v32, v46
	v_sub_f32_e32 v32, v46, v32
	v_lshrrev_b32_e32 v46, 4, v35
	v_mul_lo_u32 v46, v46, s4
	v_add_f32_e32 v15, v15, v39
	v_add_f32_e32 v39, v48, v39
	v_sub_f32_e32 v45, v39, v44
	v_or_b32_e32 v7, v46, v7
	v_add_f32_e32 v39, v44, v39
	v_add_f32_e32 v44, v49, v9
	v_sub_f32_e32 v9, v9, v49
	v_lshl_add_u32 v46, v7, 2, 0
	ds_write2_b32 v63, v54, v55 offset0:32 offset1:48
	v_sub_f32_e32 v47, v15, v38
	v_add_f32_e32 v38, v38, v15
	ds_write_b32 v63, v11 offset:384
	ds_write2_b32 v46, v6, v44 offset1:16
	ds_write2_b32 v46, v17, v10 offset0:32 offset1:48
	ds_write2_b32 v46, v13, v32 offset0:64 offset1:80
	ds_write_b32 v46, v9 offset:384
	s_waitcnt lgkmcnt(0)
	; wave barrier
	s_waitcnt lgkmcnt(0)
	ds_read2_b32 v[5:6], v5 offset1:168
	ds_read_b32 v17, v8
	ds_read2_b32 v[9:10], v14 offset0:192 offset1:248
	ds_read2_b32 v[7:8], v12 offset0:48 offset1:104
	;; [unrolled: 1-line block ×3, first 2 shown]
	ds_read_b32 v15, v28
	ds_read_b32 v27, v27
	;; [unrolled: 1-line block ×3, first 2 shown]
	ds_read2_b32 v[13:14], v14 offset0:24 offset1:136
	s_waitcnt lgkmcnt(0)
	; wave barrier
	s_waitcnt lgkmcnt(0)
	ds_write2_b32 v63, v29, v30 offset1:16
	ds_write2_b32 v63, v43, v41 offset0:32 offset1:48
	ds_write2_b32 v63, v42, v33 offset0:64 offset1:80
	ds_write_b32 v63, v40 offset:384
	ds_write2_b32 v46, v36, v47 offset1:16
	ds_write2_b32 v46, v45, v31 offset0:32 offset1:48
	ds_write2_b32 v46, v37, v39 offset0:64 offset1:80
	ds_write_b32 v46, v38 offset:384
	s_waitcnt lgkmcnt(0)
	; wave barrier
	s_waitcnt lgkmcnt(0)
	s_and_saveexec_b64 s[14:15], vcc
	s_cbranch_execz .LBB0_15
; %bb.14:
	v_mul_i32_i24_e32 v28, 6, v35
	v_mov_b32_e32 v29, 0
	v_lshlrev_b64 v[28:29], 3, v[28:29]
	v_mov_b32_e32 v30, s13
	v_add_co_u32_e32 v32, vcc, s12, v28
	v_addc_co_u32_e32 v33, vcc, v30, v29, vcc
	global_load_dwordx4 v[28:31], v[32:33], off offset:880
	global_load_dwordx4 v[35:38], v[32:33], off offset:912
	;; [unrolled: 1-line block ×3, first 2 shown]
	v_sub_u32_e32 v21, 0, v21
	v_sub_u32_e32 v22, 0, v22
	;; [unrolled: 1-line block ×4, first 2 shown]
	v_mul_u32_u24_e32 v24, 6, v34
	v_add_u32_e32 v18, v18, v21
	v_add_u32_e32 v19, v19, v22
	;; [unrolled: 1-line block ×3, first 2 shown]
	v_lshlrev_b32_e32 v47, 3, v24
	v_sub_u32_e32 v56, 0, v25
	ds_read2_b32 v[32:33], v18 offset1:168
	v_add_u32_e32 v53, 0x800, v18
	v_add_u32_e32 v51, 0x400, v18
	ds_read_b32 v59, v19
	ds_read_b32 v60, v20
	global_load_dwordx4 v[18:21], v47, s[12:13] offset:912
	global_load_dwordx4 v[22:25], v47, s[12:13] offset:880
	;; [unrolled: 1-line block ×3, first 2 shown]
	ds_read2_b32 v[47:48], v53 offset0:160 offset1:216
	ds_read2_b32 v[49:50], v51 offset0:192 offset1:248
	;; [unrolled: 1-line block ×4, first 2 shown]
	v_mul_lo_u32 v57, s1, v3
	v_mul_lo_u32 v58, s0, v4
	v_mad_u64_u32 v[3:4], s[0:1], s0, v3, 0
	v_add_u32_e32 v0, v0, v55
	ds_read_b32 v0, v0
	v_add3_u32 v4, v4, v58, v57
	v_lshlrev_b64 v[3:4], 3, v[3:4]
	s_waitcnt vmcnt(5)
	v_mul_f32_e32 v57, v6, v28
	s_waitcnt vmcnt(4) lgkmcnt(4)
	v_mul_f32_e32 v58, v38, v48
	s_waitcnt vmcnt(3) lgkmcnt(3)
	v_mul_f32_e32 v61, v42, v50
	s_waitcnt lgkmcnt(2)
	v_mul_f32_e32 v62, v40, v52
	v_mul_f32_e32 v63, v31, v51
	s_waitcnt lgkmcnt(1)
	v_mul_f32_e32 v64, v36, v54
	v_mul_f32_e32 v38, v12, v38
	;; [unrolled: 1-line block ×7, first 2 shown]
	v_fmac_f32_e32 v57, v33, v29
	v_fmac_f32_e32 v58, v12, v37
	;; [unrolled: 1-line block ×6, first 2 shown]
	v_fma_f32 v8, v37, v48, -v38
	v_fma_f32 v6, v33, v28, -v6
	v_fma_f32 v10, v39, v52, -v40
	v_fma_f32 v14, v41, v50, -v42
	v_fma_f32 v28, v35, v54, -v36
	v_fma_f32 v30, v30, v51, -v31
	v_sub_f32_e32 v31, v57, v58
	v_sub_f32_e32 v12, v61, v62
	;; [unrolled: 1-line block ×3, first 2 shown]
	v_add_f32_e32 v35, v6, v8
	v_add_f32_e32 v13, v14, v10
	;; [unrolled: 1-line block ×3, first 2 shown]
	v_sub_f32_e32 v40, v31, v12
	v_sub_f32_e32 v29, v12, v33
	v_add_f32_e32 v12, v12, v33
	v_sub_f32_e32 v42, v13, v36
	v_add_f32_e32 v48, v35, v36
	v_add_f32_e32 v52, v31, v12
	v_mul_f32_e32 v42, 0x3d64c772, v42
	v_add_f32_e32 v12, v13, v48
	v_sub_f32_e32 v41, v35, v13
	v_mul_f32_e32 v51, 0x3f08b237, v29
	v_mov_b32_e32 v29, v42
	v_add_f32_e32 v13, v59, v12
	v_add_f32_e32 v38, v61, v62
	;; [unrolled: 1-line block ×3, first 2 shown]
	v_mul_f32_e32 v54, 0x3f4a47b2, v41
	v_fmac_f32_e32 v29, 0x3f4a47b2, v41
	v_mov_b32_e32 v41, v13
	v_add_f32_e32 v37, v57, v58
	v_fmac_f32_e32 v41, 0xbf955555, v12
	v_sub_f32_e32 v12, v38, v39
	v_mul_f32_e32 v59, 0x3d64c772, v12
	v_add_f32_e32 v12, v37, v39
	v_sub_f32_e32 v50, v37, v38
	v_add_f32_e32 v38, v38, v12
	v_add_f32_e32 v12, v26, v38
	v_sub_f32_e32 v6, v6, v8
	v_sub_f32_e32 v8, v14, v10
	;; [unrolled: 1-line block ×3, first 2 shown]
	v_mov_b32_e32 v61, v59
	v_mov_b32_e32 v26, v12
	v_sub_f32_e32 v10, v6, v8
	v_sub_f32_e32 v28, v8, v14
	v_add_f32_e32 v8, v8, v14
	v_fmac_f32_e32 v61, 0x3f4a47b2, v50
	v_fmac_f32_e32 v26, 0xbf955555, v38
	v_mul_f32_e32 v38, 0x3f08b237, v28
	v_add_f32_e32 v8, v6, v8
	v_sub_f32_e32 v6, v14, v6
	v_mul_f32_e32 v48, 0x3f4a47b2, v50
	v_add_f32_e32 v50, v61, v26
	v_mov_b32_e32 v61, v38
	v_mul_f32_e32 v14, 0xbf5ff5aa, v6
	v_fmac_f32_e32 v61, 0xbeae86e6, v10
	v_sub_f32_e32 v33, v33, v31
	v_sub_f32_e32 v37, v39, v37
	v_fma_f32 v10, v10, s8, -v14
	v_fma_f32 v6, v6, s5, -v38
	v_mov_b32_e32 v57, v51
	v_fmac_f32_e32 v61, 0xbee1c552, v8
	v_mul_f32_e32 v30, 0xbf5ff5aa, v33
	v_sub_f32_e32 v35, v36, v35
	v_fmac_f32_e32 v10, 0xbee1c552, v8
	v_fmac_f32_e32 v6, 0xbee1c552, v8
	v_fma_f32 v8, v37, s6, -v59
	v_fmac_f32_e32 v57, 0xbeae86e6, v40
	v_fma_f32 v40, v40, s8, -v30
	v_fma_f32 v30, v35, s7, -v54
	v_add_f32_e32 v8, v8, v26
	v_add_f32_e32 v54, v30, v41
	v_fma_f32 v30, v37, s7, -v48
	v_fma_f32 v14, v35, s6, -v42
	v_add_f32_e32 v35, v6, v8
	v_sub_f32_e32 v37, v8, v6
	v_add_u32_e32 v6, v16, v56
	ds_read_b32 v6, v6
	v_fma_f32 v33, v33, s5, -v51
	v_add_f32_e32 v39, v30, v26
	v_add_f32_e32 v14, v14, v41
	v_fmac_f32_e32 v33, 0xbee1c552, v52
	v_add_f32_e32 v58, v29, v41
	v_sub_f32_e32 v28, v50, v61
	v_sub_f32_e32 v30, v39, v10
	;; [unrolled: 1-line block ×3, first 2 shown]
	v_add_f32_e32 v38, v33, v14
	v_add_f32_e32 v39, v10, v39
	;; [unrolled: 1-line block ×3, first 2 shown]
	s_waitcnt vmcnt(1)
	v_mul_f32_e32 v10, v27, v22
	v_mul_f32_e32 v14, v11, v20
	s_waitcnt vmcnt(0)
	v_mul_f32_e32 v33, v9, v45
	v_mul_f32_e32 v16, v17, v43
	;; [unrolled: 1-line block ×4, first 2 shown]
	v_fmac_f32_e32 v10, v60, v23
	v_fmac_f32_e32 v14, v47, v21
	;; [unrolled: 1-line block ×3, first 2 shown]
	s_waitcnt lgkmcnt(0)
	v_fmac_f32_e32 v16, v6, v44
	v_fmac_f32_e32 v50, v0, v25
	;; [unrolled: 1-line block ×5, first 2 shown]
	v_sub_f32_e32 v26, v10, v14
	v_sub_f32_e32 v8, v33, v16
	;; [unrolled: 1-line block ×3, first 2 shown]
	v_add_f32_e32 v31, v40, v54
	v_sub_f32_e32 v40, v54, v40
	v_sub_f32_e32 v48, v26, v8
	;; [unrolled: 1-line block ×3, first 2 shown]
	v_add_f32_e32 v8, v8, v52
	v_add_f32_e32 v56, v26, v8
	v_mul_f32_e32 v8, v11, v21
	v_fma_f32 v11, v47, v20, -v8
	v_mul_f32_e32 v8, v27, v23
	v_fma_f32 v20, v60, v22, -v8
	;; [unrolled: 2-line block ×3, first 2 shown]
	v_mul_f32_e32 v6, v9, v46
	v_mul_f32_e32 v7, v7, v19
	;; [unrolled: 1-line block ×3, first 2 shown]
	v_fma_f32 v9, v49, v45, -v6
	v_fma_f32 v7, v53, v18, -v7
	v_fma_f32 v0, v0, v24, -v15
	v_add_f32_e32 v6, v9, v17
	v_add_f32_e32 v15, v0, v7
	v_sub_f32_e32 v18, v6, v15
	v_add_f32_e32 v21, v20, v11
	v_mul_f32_e32 v18, 0x3d64c772, v18
	v_sub_f32_e32 v8, v21, v6
	v_mov_b32_e32 v19, v18
	v_mul_f32_e32 v22, 0x3f4a47b2, v8
	v_fmac_f32_e32 v19, 0x3f4a47b2, v8
	v_add_f32_e32 v8, v21, v15
	v_add_f32_e32 v8, v6, v8
	;; [unrolled: 1-line block ×6, first 2 shown]
	v_sub_f32_e32 v27, v10, v25
	v_mov_b32_e32 v23, v6
	v_mul_f32_e32 v27, 0x3d64c772, v27
	v_fmac_f32_e32 v23, 0xbf955555, v8
	v_sub_f32_e32 v16, v14, v10
	v_mov_b32_e32 v32, v27
	v_add_f32_e32 v24, v19, v23
	v_mul_f32_e32 v19, 0x3f4a47b2, v16
	v_fmac_f32_e32 v32, 0x3f4a47b2, v16
	v_add_f32_e32 v16, v14, v25
	v_sub_f32_e32 v9, v9, v17
	v_sub_f32_e32 v0, v0, v7
	v_add_f32_e32 v10, v10, v16
	v_sub_f32_e32 v11, v20, v11
	v_sub_f32_e32 v7, v9, v0
	;; [unrolled: 1-line block ×3, first 2 shown]
	v_add_f32_e32 v5, v5, v10
	v_sub_f32_e32 v17, v11, v9
	v_mul_f32_e32 v20, 0x3f08b237, v7
	v_add_f32_e32 v7, v9, v0
	v_mul_f32_e32 v9, 0xbf5ff5aa, v26
	v_sub_f32_e32 v15, v15, v21
	v_mov_b32_e32 v16, v5
	v_fma_f32 v44, v48, s8, -v9
	v_fma_f32 v9, v15, s7, -v22
	v_sub_f32_e32 v14, v25, v14
	v_fmac_f32_e32 v16, 0xbf955555, v10
	v_add_f32_e32 v21, v9, v23
	v_fma_f32 v9, v14, s7, -v19
	v_sub_f32_e32 v0, v0, v11
	v_fma_f32 v15, v15, s6, -v18
	v_mov_b32_e32 v33, v20
	v_add_f32_e32 v25, v9, v16
	v_mul_f32_e32 v9, 0xbf5ff5aa, v0
	v_add_f32_e32 v18, v15, v23
	v_lshrrev_b32_e32 v15, 4, v34
	s_mov_b32 s7, 0x24924925
	v_fmac_f32_e32 v33, 0xbeae86e6, v17
	v_add_f32_e32 v43, v11, v7
	v_fma_f32 v11, v17, s8, -v9
	v_mul_hi_u32 v17, v15, s7
	v_mul_f32_e32 v54, 0x3f08b237, v54
	v_fma_f32 v19, v26, s5, -v54
	v_fma_f32 v14, v14, s6, -v27
	v_mul_lo_u32 v17, v17, s4
	v_add_f32_e32 v32, v32, v16
	v_fma_f32 v0, v0, s5, -v20
	v_add_f32_e32 v20, v14, v16
	v_sub_u32_e32 v26, v34, v17
	v_mad_u64_u32 v[16:17], s[0:1], s2, v26, 0
	v_fmac_f32_e32 v19, 0xbee1c552, v56
	v_fmac_f32_e32 v0, 0xbee1c552, v43
	v_sub_f32_e32 v15, v18, v19
	v_add_f32_e32 v14, v0, v20
	v_add_f32_e32 v19, v19, v18
	v_sub_f32_e32 v18, v20, v0
	v_mov_b32_e32 v0, v17
	v_mad_u64_u32 v[22:23], s[0:1], s3, v26, v[0:1]
	v_fmac_f32_e32 v11, 0xbee1c552, v43
	v_sub_f32_e32 v9, v25, v11
	v_add_f32_e32 v20, v11, v25
	v_mov_b32_e32 v17, v22
	v_mov_b32_e32 v0, s11
	v_add_co_u32_e32 v11, vcc, s10, v3
	v_add_u32_e32 v22, 0x70, v26
	v_addc_co_u32_e32 v4, vcc, v0, v4, vcc
	v_lshlrev_b64 v[0:1], 3, v[1:2]
	v_mad_u64_u32 v[2:3], s[0:1], s2, v22, 0
	v_add_co_u32_e32 v11, vcc, v11, v0
	v_addc_co_u32_e32 v25, vcc, v4, v1, vcc
	v_lshlrev_b64 v[0:1], 3, v[16:17]
	v_mad_u64_u32 v[3:4], s[0:1], s3, v22, v[3:4]
	v_add_co_u32_e32 v0, vcc, v11, v0
	v_addc_co_u32_e32 v1, vcc, v25, v1, vcc
	v_add_u32_e32 v4, 0xe0, v26
	global_store_dwordx2 v[0:1], v[5:6], off
	v_lshlrev_b64 v[0:1], 3, v[2:3]
	v_mad_u64_u32 v[2:3], s[0:1], s2, v4, 0
	v_add_u32_e32 v6, 0x150, v26
	v_mov_b32_e32 v55, v54
	v_mad_u64_u32 v[3:4], s[0:1], s3, v4, v[3:4]
	v_mad_u64_u32 v[4:5], s[0:1], s2, v6, 0
	v_fmac_f32_e32 v55, 0xbeae86e6, v48
	v_fmac_f32_e32 v55, 0xbee1c552, v56
	;; [unrolled: 1-line block ×3, first 2 shown]
	v_add_co_u32_e32 v0, vcc, v11, v0
	v_add_f32_e32 v8, v55, v24
	v_sub_f32_e32 v24, v24, v55
	v_add_f32_e32 v23, v33, v32
	v_addc_co_u32_e32 v1, vcc, v25, v1, vcc
	global_store_dwordx2 v[0:1], v[23:24], off
	v_lshlrev_b64 v[0:1], 3, v[2:3]
	v_mov_b32_e32 v2, v5
	v_mad_u64_u32 v[2:3], s[0:1], s3, v6, v[2:3]
	v_fmac_f32_e32 v44, 0xbee1c552, v56
	v_add_co_u32_e32 v0, vcc, v11, v0
	v_add_f32_e32 v10, v44, v21
	v_sub_f32_e32 v21, v21, v44
	v_addc_co_u32_e32 v1, vcc, v25, v1, vcc
	v_mov_b32_e32 v5, v2
	global_store_dwordx2 v[0:1], v[20:21], off
	v_lshlrev_b64 v[0:1], 3, v[4:5]
	v_add_u32_e32 v4, 0x1c0, v26
	v_mad_u64_u32 v[2:3], s[0:1], s2, v4, 0
	v_add_u32_e32 v6, 0x230, v26
	v_add_co_u32_e32 v0, vcc, v11, v0
	v_mad_u64_u32 v[3:4], s[0:1], s3, v4, v[3:4]
	v_mad_u64_u32 v[4:5], s[0:1], s2, v6, 0
	v_addc_co_u32_e32 v1, vcc, v25, v1, vcc
	global_store_dwordx2 v[0:1], v[18:19], off
	v_lshlrev_b64 v[0:1], 3, v[2:3]
	v_mov_b32_e32 v2, v5
	v_mad_u64_u32 v[2:3], s[0:1], s3, v6, v[2:3]
	v_add_co_u32_e32 v0, vcc, v11, v0
	v_addc_co_u32_e32 v1, vcc, v25, v1, vcc
	v_mov_b32_e32 v5, v2
	global_store_dwordx2 v[0:1], v[14:15], off
	v_lshlrev_b64 v[0:1], 3, v[4:5]
	v_add_u32_e32 v4, 56, v34
	v_lshrrev_b32_e32 v2, 4, v4
	v_mul_hi_u32 v5, v2, s7
	v_add_u32_e32 v6, 0x2a0, v26
	v_mad_u64_u32 v[2:3], s[0:1], s2, v6, 0
	v_mul_lo_u32 v14, v5, s4
	s_movk_i32 s0, 0x310
	v_add_co_u32_e32 v0, vcc, v11, v0
	v_sub_u32_e32 v4, v4, v14
	v_mad_u64_u32 v[4:5], s[0:1], v5, s0, v[4:5]
	v_addc_co_u32_e32 v1, vcc, v25, v1, vcc
	v_mad_u64_u32 v[5:6], s[0:1], s3, v6, v[3:4]
	v_mad_u64_u32 v[14:15], s[0:1], s2, v4, 0
	v_mov_b32_e32 v3, v5
	global_store_dwordx2 v[0:1], v[9:10], off
	v_lshlrev_b64 v[0:1], 3, v[2:3]
	v_mov_b32_e32 v2, v15
	v_mad_u64_u32 v[2:3], s[0:1], s3, v4, v[2:3]
	v_add_u32_e32 v5, 0x70, v4
	v_add_co_u32_e32 v0, vcc, v11, v0
	v_mov_b32_e32 v15, v2
	v_mad_u64_u32 v[2:3], s[0:1], s2, v5, 0
	v_sub_f32_e32 v7, v32, v33
	v_addc_co_u32_e32 v1, vcc, v25, v1, vcc
	global_store_dwordx2 v[0:1], v[7:8], off
	v_mad_u64_u32 v[5:6], s[0:1], s3, v5, v[3:4]
	v_add_u32_e32 v8, 0xe0, v4
	v_lshlrev_b64 v[0:1], 3, v[14:15]
	v_mad_u64_u32 v[6:7], s[0:1], s2, v8, 0
	v_add_co_u32_e32 v0, vcc, v11, v0
	v_addc_co_u32_e32 v1, vcc, v25, v1, vcc
	v_mov_b32_e32 v3, v5
	global_store_dwordx2 v[0:1], v[12:13], off
	v_lshlrev_b64 v[0:1], 3, v[2:3]
	v_mov_b32_e32 v2, v7
	v_mad_u64_u32 v[2:3], s[0:1], s3, v8, v[2:3]
	v_add_u32_e32 v5, 0x150, v4
	v_add_co_u32_e32 v0, vcc, v11, v0
	v_mov_b32_e32 v7, v2
	v_mad_u64_u32 v[2:3], s[0:1], s2, v5, 0
	v_sub_f32_e32 v42, v58, v57
	v_addc_co_u32_e32 v1, vcc, v25, v1, vcc
	global_store_dwordx2 v[0:1], v[41:42], off
	v_lshlrev_b64 v[0:1], 3, v[6:7]
	v_mad_u64_u32 v[5:6], s[0:1], s3, v5, v[3:4]
	v_add_u32_e32 v8, 0x1c0, v4
	v_mad_u64_u32 v[6:7], s[0:1], s2, v8, 0
	v_add_co_u32_e32 v0, vcc, v11, v0
	v_addc_co_u32_e32 v1, vcc, v25, v1, vcc
	v_mov_b32_e32 v3, v5
	global_store_dwordx2 v[0:1], v[39:40], off
	v_lshlrev_b64 v[0:1], 3, v[2:3]
	v_mov_b32_e32 v2, v7
	v_mad_u64_u32 v[2:3], s[0:1], s3, v8, v[2:3]
	v_add_u32_e32 v5, 0x230, v4
	v_add_co_u32_e32 v0, vcc, v11, v0
	v_mov_b32_e32 v7, v2
	v_mad_u64_u32 v[2:3], s[0:1], s2, v5, 0
	v_addc_co_u32_e32 v1, vcc, v25, v1, vcc
	global_store_dwordx2 v[0:1], v[37:38], off
	v_lshlrev_b64 v[0:1], 3, v[6:7]
	v_mad_u64_u32 v[5:6], s[0:1], s3, v5, v[3:4]
	v_add_u32_e32 v4, 0x2a0, v4
	v_mad_u64_u32 v[6:7], s[0:1], s2, v4, 0
	v_add_co_u32_e32 v0, vcc, v11, v0
	v_addc_co_u32_e32 v1, vcc, v25, v1, vcc
	v_mov_b32_e32 v3, v5
	global_store_dwordx2 v[0:1], v[35:36], off
	v_lshlrev_b64 v[0:1], 3, v[2:3]
	v_mov_b32_e32 v2, v7
	v_mad_u64_u32 v[2:3], s[0:1], s3, v4, v[2:3]
	v_add_co_u32_e32 v0, vcc, v11, v0
	v_addc_co_u32_e32 v1, vcc, v25, v1, vcc
	v_mov_b32_e32 v7, v2
	global_store_dwordx2 v[0:1], v[30:31], off
	v_lshlrev_b64 v[0:1], 3, v[6:7]
	v_add_f32_e32 v29, v57, v58
	v_add_co_u32_e32 v0, vcc, v11, v0
	v_addc_co_u32_e32 v1, vcc, v25, v1, vcc
	global_store_dwordx2 v[0:1], v[28:29], off
.LBB0_15:
	s_endpgm
	.section	.rodata,"a",@progbits
	.p2align	6, 0x0
	.amdhsa_kernel fft_rtc_back_len784_factors_2_2_2_2_7_7_wgs_56_tpt_56_halfLds_sp_op_CI_CI_sbrr_dirReg
		.amdhsa_group_segment_fixed_size 0
		.amdhsa_private_segment_fixed_size 0
		.amdhsa_kernarg_size 104
		.amdhsa_user_sgpr_count 6
		.amdhsa_user_sgpr_private_segment_buffer 1
		.amdhsa_user_sgpr_dispatch_ptr 0
		.amdhsa_user_sgpr_queue_ptr 0
		.amdhsa_user_sgpr_kernarg_segment_ptr 1
		.amdhsa_user_sgpr_dispatch_id 0
		.amdhsa_user_sgpr_flat_scratch_init 0
		.amdhsa_user_sgpr_private_segment_size 0
		.amdhsa_uses_dynamic_stack 0
		.amdhsa_system_sgpr_private_segment_wavefront_offset 0
		.amdhsa_system_sgpr_workgroup_id_x 1
		.amdhsa_system_sgpr_workgroup_id_y 0
		.amdhsa_system_sgpr_workgroup_id_z 0
		.amdhsa_system_sgpr_workgroup_info 0
		.amdhsa_system_vgpr_workitem_id 0
		.amdhsa_next_free_vgpr 71
		.amdhsa_next_free_sgpr 32
		.amdhsa_reserve_vcc 1
		.amdhsa_reserve_flat_scratch 0
		.amdhsa_float_round_mode_32 0
		.amdhsa_float_round_mode_16_64 0
		.amdhsa_float_denorm_mode_32 3
		.amdhsa_float_denorm_mode_16_64 3
		.amdhsa_dx10_clamp 1
		.amdhsa_ieee_mode 1
		.amdhsa_fp16_overflow 0
		.amdhsa_exception_fp_ieee_invalid_op 0
		.amdhsa_exception_fp_denorm_src 0
		.amdhsa_exception_fp_ieee_div_zero 0
		.amdhsa_exception_fp_ieee_overflow 0
		.amdhsa_exception_fp_ieee_underflow 0
		.amdhsa_exception_fp_ieee_inexact 0
		.amdhsa_exception_int_div_zero 0
	.end_amdhsa_kernel
	.text
.Lfunc_end0:
	.size	fft_rtc_back_len784_factors_2_2_2_2_7_7_wgs_56_tpt_56_halfLds_sp_op_CI_CI_sbrr_dirReg, .Lfunc_end0-fft_rtc_back_len784_factors_2_2_2_2_7_7_wgs_56_tpt_56_halfLds_sp_op_CI_CI_sbrr_dirReg
                                        ; -- End function
	.section	.AMDGPU.csdata,"",@progbits
; Kernel info:
; codeLenInByte = 9116
; NumSgprs: 36
; NumVgprs: 71
; ScratchSize: 0
; MemoryBound: 0
; FloatMode: 240
; IeeeMode: 1
; LDSByteSize: 0 bytes/workgroup (compile time only)
; SGPRBlocks: 4
; VGPRBlocks: 17
; NumSGPRsForWavesPerEU: 36
; NumVGPRsForWavesPerEU: 71
; Occupancy: 3
; WaveLimiterHint : 1
; COMPUTE_PGM_RSRC2:SCRATCH_EN: 0
; COMPUTE_PGM_RSRC2:USER_SGPR: 6
; COMPUTE_PGM_RSRC2:TRAP_HANDLER: 0
; COMPUTE_PGM_RSRC2:TGID_X_EN: 1
; COMPUTE_PGM_RSRC2:TGID_Y_EN: 0
; COMPUTE_PGM_RSRC2:TGID_Z_EN: 0
; COMPUTE_PGM_RSRC2:TIDIG_COMP_CNT: 0
	.type	__hip_cuid_4a5733bf73cdbd64,@object ; @__hip_cuid_4a5733bf73cdbd64
	.section	.bss,"aw",@nobits
	.globl	__hip_cuid_4a5733bf73cdbd64
__hip_cuid_4a5733bf73cdbd64:
	.byte	0                               ; 0x0
	.size	__hip_cuid_4a5733bf73cdbd64, 1

	.ident	"AMD clang version 19.0.0git (https://github.com/RadeonOpenCompute/llvm-project roc-6.4.0 25133 c7fe45cf4b819c5991fe208aaa96edf142730f1d)"
	.section	".note.GNU-stack","",@progbits
	.addrsig
	.addrsig_sym __hip_cuid_4a5733bf73cdbd64
	.amdgpu_metadata
---
amdhsa.kernels:
  - .args:
      - .actual_access:  read_only
        .address_space:  global
        .offset:         0
        .size:           8
        .value_kind:     global_buffer
      - .offset:         8
        .size:           8
        .value_kind:     by_value
      - .actual_access:  read_only
        .address_space:  global
        .offset:         16
        .size:           8
        .value_kind:     global_buffer
      - .actual_access:  read_only
        .address_space:  global
        .offset:         24
        .size:           8
        .value_kind:     global_buffer
      - .actual_access:  read_only
        .address_space:  global
        .offset:         32
        .size:           8
        .value_kind:     global_buffer
      - .offset:         40
        .size:           8
        .value_kind:     by_value
      - .actual_access:  read_only
        .address_space:  global
        .offset:         48
        .size:           8
        .value_kind:     global_buffer
      - .actual_access:  read_only
        .address_space:  global
        .offset:         56
        .size:           8
        .value_kind:     global_buffer
      - .offset:         64
        .size:           4
        .value_kind:     by_value
      - .actual_access:  read_only
        .address_space:  global
        .offset:         72
        .size:           8
        .value_kind:     global_buffer
      - .actual_access:  read_only
        .address_space:  global
        .offset:         80
        .size:           8
        .value_kind:     global_buffer
      - .actual_access:  read_only
        .address_space:  global
        .offset:         88
        .size:           8
        .value_kind:     global_buffer
      - .actual_access:  write_only
        .address_space:  global
        .offset:         96
        .size:           8
        .value_kind:     global_buffer
    .group_segment_fixed_size: 0
    .kernarg_segment_align: 8
    .kernarg_segment_size: 104
    .language:       OpenCL C
    .language_version:
      - 2
      - 0
    .max_flat_workgroup_size: 56
    .name:           fft_rtc_back_len784_factors_2_2_2_2_7_7_wgs_56_tpt_56_halfLds_sp_op_CI_CI_sbrr_dirReg
    .private_segment_fixed_size: 0
    .sgpr_count:     36
    .sgpr_spill_count: 0
    .symbol:         fft_rtc_back_len784_factors_2_2_2_2_7_7_wgs_56_tpt_56_halfLds_sp_op_CI_CI_sbrr_dirReg.kd
    .uniform_work_group_size: 1
    .uses_dynamic_stack: false
    .vgpr_count:     71
    .vgpr_spill_count: 0
    .wavefront_size: 64
amdhsa.target:   amdgcn-amd-amdhsa--gfx906
amdhsa.version:
  - 1
  - 2
...

	.end_amdgpu_metadata
